;; amdgpu-corpus repo=ROCm/rocFFT kind=compiled arch=gfx906 opt=O3
	.text
	.amdgcn_target "amdgcn-amd-amdhsa--gfx906"
	.amdhsa_code_object_version 6
	.protected	fft_rtc_back_len1089_factors_3_11_3_11_wgs_121_tpt_121_half_op_CI_CI_sbrr_dirReg ; -- Begin function fft_rtc_back_len1089_factors_3_11_3_11_wgs_121_tpt_121_half_op_CI_CI_sbrr_dirReg
	.globl	fft_rtc_back_len1089_factors_3_11_3_11_wgs_121_tpt_121_half_op_CI_CI_sbrr_dirReg
	.p2align	8
	.type	fft_rtc_back_len1089_factors_3_11_3_11_wgs_121_tpt_121_half_op_CI_CI_sbrr_dirReg,@function
fft_rtc_back_len1089_factors_3_11_3_11_wgs_121_tpt_121_half_op_CI_CI_sbrr_dirReg: ; @fft_rtc_back_len1089_factors_3_11_3_11_wgs_121_tpt_121_half_op_CI_CI_sbrr_dirReg
; %bb.0:
	s_load_dwordx4 s[16:19], s[4:5], 0x18
	s_load_dwordx4 s[12:15], s[4:5], 0x0
	;; [unrolled: 1-line block ×3, first 2 shown]
	v_mul_u32_u24_e32 v1, 0x21e, v0
	v_mov_b32_e32 v7, 0
	s_waitcnt lgkmcnt(0)
	s_load_dwordx2 s[2:3], s[16:17], 0x0
	s_load_dwordx2 s[20:21], s[18:19], 0x0
	v_cmp_lt_u64_e64 s[0:1], s[14:15], 2
	v_mov_b32_e32 v5, 0
	v_add_u32_sdwa v9, s6, v1 dst_sel:DWORD dst_unused:UNUSED_PAD src0_sel:DWORD src1_sel:WORD_1
	v_mov_b32_e32 v10, v7
	s_and_b64 vcc, exec, s[0:1]
	v_mov_b32_e32 v6, 0
	s_cbranch_vccnz .LBB0_8
; %bb.1:
	s_load_dwordx2 s[0:1], s[4:5], 0x10
	s_add_u32 s6, s18, 8
	s_addc_u32 s7, s19, 0
	s_add_u32 s22, s16, 8
	s_addc_u32 s23, s17, 0
	v_mov_b32_e32 v5, 0
	s_waitcnt lgkmcnt(0)
	s_add_u32 s24, s0, 8
	v_mov_b32_e32 v6, 0
	v_mov_b32_e32 v1, v5
	s_addc_u32 s25, s1, 0
	s_mov_b64 s[26:27], 1
	v_mov_b32_e32 v2, v6
.LBB0_2:                                ; =>This Inner Loop Header: Depth=1
	s_load_dwordx2 s[28:29], s[24:25], 0x0
                                        ; implicit-def: $vgpr3_vgpr4
	s_waitcnt lgkmcnt(0)
	v_or_b32_e32 v8, s29, v10
	v_cmp_ne_u64_e32 vcc, 0, v[7:8]
	s_and_saveexec_b64 s[0:1], vcc
	s_xor_b64 s[30:31], exec, s[0:1]
	s_cbranch_execz .LBB0_4
; %bb.3:                                ;   in Loop: Header=BB0_2 Depth=1
	v_cvt_f32_u32_e32 v3, s28
	v_cvt_f32_u32_e32 v4, s29
	s_sub_u32 s0, 0, s28
	s_subb_u32 s1, 0, s29
	v_mac_f32_e32 v3, 0x4f800000, v4
	v_rcp_f32_e32 v3, v3
	v_mul_f32_e32 v3, 0x5f7ffffc, v3
	v_mul_f32_e32 v4, 0x2f800000, v3
	v_trunc_f32_e32 v4, v4
	v_mac_f32_e32 v3, 0xcf800000, v4
	v_cvt_u32_f32_e32 v4, v4
	v_cvt_u32_f32_e32 v3, v3
	v_mul_lo_u32 v8, s0, v4
	v_mul_hi_u32 v11, s0, v3
	v_mul_lo_u32 v13, s1, v3
	v_mul_lo_u32 v12, s0, v3
	v_add_u32_e32 v8, v11, v8
	v_add_u32_e32 v8, v8, v13
	v_mul_hi_u32 v11, v3, v12
	v_mul_lo_u32 v13, v3, v8
	v_mul_hi_u32 v15, v3, v8
	v_mul_hi_u32 v14, v4, v12
	v_mul_lo_u32 v12, v4, v12
	v_mul_hi_u32 v16, v4, v8
	v_add_co_u32_e32 v11, vcc, v11, v13
	v_addc_co_u32_e32 v13, vcc, 0, v15, vcc
	v_mul_lo_u32 v8, v4, v8
	v_add_co_u32_e32 v11, vcc, v11, v12
	v_addc_co_u32_e32 v11, vcc, v13, v14, vcc
	v_addc_co_u32_e32 v12, vcc, 0, v16, vcc
	v_add_co_u32_e32 v8, vcc, v11, v8
	v_addc_co_u32_e32 v11, vcc, 0, v12, vcc
	v_add_co_u32_e32 v3, vcc, v3, v8
	v_addc_co_u32_e32 v4, vcc, v4, v11, vcc
	v_mul_lo_u32 v8, s0, v4
	v_mul_hi_u32 v11, s0, v3
	v_mul_lo_u32 v12, s1, v3
	v_mul_lo_u32 v13, s0, v3
	v_add_u32_e32 v8, v11, v8
	v_add_u32_e32 v8, v8, v12
	v_mul_lo_u32 v14, v3, v8
	v_mul_hi_u32 v15, v3, v13
	v_mul_hi_u32 v16, v3, v8
	;; [unrolled: 1-line block ×3, first 2 shown]
	v_mul_lo_u32 v13, v4, v13
	v_mul_hi_u32 v11, v4, v8
	v_add_co_u32_e32 v14, vcc, v15, v14
	v_addc_co_u32_e32 v15, vcc, 0, v16, vcc
	v_mul_lo_u32 v8, v4, v8
	v_add_co_u32_e32 v13, vcc, v14, v13
	v_addc_co_u32_e32 v12, vcc, v15, v12, vcc
	v_addc_co_u32_e32 v11, vcc, 0, v11, vcc
	v_add_co_u32_e32 v8, vcc, v12, v8
	v_addc_co_u32_e32 v11, vcc, 0, v11, vcc
	v_add_co_u32_e32 v8, vcc, v3, v8
	v_addc_co_u32_e32 v11, vcc, v4, v11, vcc
	v_mad_u64_u32 v[3:4], s[0:1], v9, v11, 0
	v_mul_hi_u32 v12, v9, v8
	v_add_co_u32_e32 v13, vcc, v12, v3
	v_addc_co_u32_e32 v14, vcc, 0, v4, vcc
	v_mad_u64_u32 v[3:4], s[0:1], v10, v8, 0
	v_mad_u64_u32 v[11:12], s[0:1], v10, v11, 0
	v_add_co_u32_e32 v3, vcc, v13, v3
	v_addc_co_u32_e32 v3, vcc, v14, v4, vcc
	v_addc_co_u32_e32 v4, vcc, 0, v12, vcc
	v_add_co_u32_e32 v8, vcc, v3, v11
	v_addc_co_u32_e32 v11, vcc, 0, v4, vcc
	v_mul_lo_u32 v12, s29, v8
	v_mul_lo_u32 v13, s28, v11
	v_mad_u64_u32 v[3:4], s[0:1], s28, v8, 0
	v_add3_u32 v4, v4, v13, v12
	v_sub_u32_e32 v12, v10, v4
	v_mov_b32_e32 v13, s29
	v_sub_co_u32_e32 v3, vcc, v9, v3
	v_subb_co_u32_e64 v12, s[0:1], v12, v13, vcc
	v_subrev_co_u32_e64 v13, s[0:1], s28, v3
	v_subbrev_co_u32_e64 v12, s[0:1], 0, v12, s[0:1]
	v_cmp_le_u32_e64 s[0:1], s29, v12
	v_cndmask_b32_e64 v14, 0, -1, s[0:1]
	v_cmp_le_u32_e64 s[0:1], s28, v13
	v_cndmask_b32_e64 v13, 0, -1, s[0:1]
	v_cmp_eq_u32_e64 s[0:1], s29, v12
	v_cndmask_b32_e64 v12, v14, v13, s[0:1]
	v_add_co_u32_e64 v13, s[0:1], 2, v8
	v_addc_co_u32_e64 v14, s[0:1], 0, v11, s[0:1]
	v_add_co_u32_e64 v15, s[0:1], 1, v8
	v_addc_co_u32_e64 v16, s[0:1], 0, v11, s[0:1]
	v_subb_co_u32_e32 v4, vcc, v10, v4, vcc
	v_cmp_ne_u32_e64 s[0:1], 0, v12
	v_cmp_le_u32_e32 vcc, s29, v4
	v_cndmask_b32_e64 v12, v16, v14, s[0:1]
	v_cndmask_b32_e64 v14, 0, -1, vcc
	v_cmp_le_u32_e32 vcc, s28, v3
	v_cndmask_b32_e64 v3, 0, -1, vcc
	v_cmp_eq_u32_e32 vcc, s29, v4
	v_cndmask_b32_e32 v3, v14, v3, vcc
	v_cmp_ne_u32_e32 vcc, 0, v3
	v_cndmask_b32_e64 v3, v15, v13, s[0:1]
	v_cndmask_b32_e32 v4, v11, v12, vcc
	v_cndmask_b32_e32 v3, v8, v3, vcc
.LBB0_4:                                ;   in Loop: Header=BB0_2 Depth=1
	s_andn2_saveexec_b64 s[0:1], s[30:31]
	s_cbranch_execz .LBB0_6
; %bb.5:                                ;   in Loop: Header=BB0_2 Depth=1
	v_cvt_f32_u32_e32 v3, s28
	s_sub_i32 s30, 0, s28
	v_rcp_iflag_f32_e32 v3, v3
	v_mul_f32_e32 v3, 0x4f7ffffe, v3
	v_cvt_u32_f32_e32 v3, v3
	v_mul_lo_u32 v4, s30, v3
	v_mul_hi_u32 v4, v3, v4
	v_add_u32_e32 v3, v3, v4
	v_mul_hi_u32 v3, v9, v3
	v_mul_lo_u32 v4, v3, s28
	v_add_u32_e32 v8, 1, v3
	v_sub_u32_e32 v4, v9, v4
	v_subrev_u32_e32 v11, s28, v4
	v_cmp_le_u32_e32 vcc, s28, v4
	v_cndmask_b32_e32 v4, v4, v11, vcc
	v_cndmask_b32_e32 v3, v3, v8, vcc
	v_add_u32_e32 v8, 1, v3
	v_cmp_le_u32_e32 vcc, s28, v4
	v_cndmask_b32_e32 v3, v3, v8, vcc
	v_mov_b32_e32 v4, v7
.LBB0_6:                                ;   in Loop: Header=BB0_2 Depth=1
	s_or_b64 exec, exec, s[0:1]
	v_mul_lo_u32 v8, v4, s28
	v_mul_lo_u32 v13, v3, s29
	v_mad_u64_u32 v[11:12], s[0:1], v3, s28, 0
	s_load_dwordx2 s[0:1], s[22:23], 0x0
	s_load_dwordx2 s[28:29], s[6:7], 0x0
	v_add3_u32 v8, v12, v13, v8
	v_sub_co_u32_e32 v9, vcc, v9, v11
	v_subb_co_u32_e32 v8, vcc, v10, v8, vcc
	s_waitcnt lgkmcnt(0)
	v_mul_lo_u32 v10, s0, v8
	v_mul_lo_u32 v11, s1, v9
	v_mad_u64_u32 v[5:6], s[0:1], s0, v9, v[5:6]
	v_mul_lo_u32 v8, s28, v8
	v_mul_lo_u32 v12, s29, v9
	v_mad_u64_u32 v[1:2], s[0:1], s28, v9, v[1:2]
	s_add_u32 s26, s26, 1
	s_addc_u32 s27, s27, 0
	s_add_u32 s6, s6, 8
	v_add3_u32 v2, v12, v2, v8
	s_addc_u32 s7, s7, 0
	v_mov_b32_e32 v8, s14
	s_add_u32 s22, s22, 8
	v_mov_b32_e32 v9, s15
	s_addc_u32 s23, s23, 0
	v_cmp_ge_u64_e32 vcc, s[26:27], v[8:9]
	s_add_u32 s24, s24, 8
	v_add3_u32 v6, v11, v6, v10
	s_addc_u32 s25, s25, 0
	s_cbranch_vccnz .LBB0_9
; %bb.7:                                ;   in Loop: Header=BB0_2 Depth=1
	v_mov_b32_e32 v10, v4
	v_mov_b32_e32 v9, v3
	s_branch .LBB0_2
.LBB0_8:
	v_mov_b32_e32 v1, v5
	v_mov_b32_e32 v3, v9
	;; [unrolled: 1-line block ×4, first 2 shown]
.LBB0_9:
	s_load_dwordx2 s[0:1], s[4:5], 0x28
	s_lshl_b64 s[14:15], s[14:15], 3
	s_add_u32 s4, s18, s14
	s_addc_u32 s5, s19, s15
                                        ; implicit-def: $vgpr15
                                        ; implicit-def: $vgpr16
                                        ; implicit-def: $vgpr17
	s_waitcnt lgkmcnt(0)
	v_cmp_gt_u64_e32 vcc, s[0:1], v[3:4]
	v_cmp_le_u64_e64 s[0:1], s[0:1], v[3:4]
	s_and_saveexec_b64 s[6:7], s[0:1]
	s_xor_b64 s[0:1], exec, s[6:7]
; %bb.10:
	s_mov_b32 s6, 0x21d9eae
	v_mul_hi_u32 v5, v0, s6
	v_mul_u32_u24_e32 v5, 0x79, v5
	v_sub_u32_e32 v15, v0, v5
	v_add_u32_e32 v16, 0x79, v15
	v_add_u32_e32 v17, 0xf2, v15
                                        ; implicit-def: $vgpr0
                                        ; implicit-def: $vgpr5_vgpr6
; %bb.11:
	s_or_saveexec_b64 s[6:7], s[0:1]
                                        ; implicit-def: $vgpr7
                                        ; implicit-def: $vgpr8
                                        ; implicit-def: $vgpr18
                                        ; implicit-def: $vgpr11
                                        ; implicit-def: $vgpr12
                                        ; implicit-def: $vgpr14
                                        ; implicit-def: $vgpr9
                                        ; implicit-def: $vgpr10
                                        ; implicit-def: $vgpr13
	s_xor_b64 exec, exec, s[6:7]
	s_cbranch_execz .LBB0_13
; %bb.12:
	s_add_u32 s0, s16, s14
	s_mov_b32 s14, 0x21d9eae
	v_mul_hi_u32 v7, v0, s14
	s_addc_u32 s1, s17, s15
	s_load_dwordx2 s[0:1], s[0:1], 0x0
	v_lshlrev_b64 v[5:6], 2, v[5:6]
	v_mul_u32_u24_e32 v7, 0x79, v7
	v_sub_u32_e32 v15, v0, v7
	v_mad_u64_u32 v[7:8], s[14:15], s2, v15, 0
	s_waitcnt lgkmcnt(0)
	v_mul_lo_u32 v13, s1, v3
	v_mul_lo_u32 v14, s0, v4
	v_mad_u64_u32 v[9:10], s[0:1], s0, v3, 0
	v_mov_b32_e32 v0, v8
	v_mad_u64_u32 v[11:12], s[0:1], s3, v15, v[0:1]
	v_add3_u32 v10, v10, v14, v13
	v_lshlrev_b64 v[9:10], 2, v[9:10]
	v_mov_b32_e32 v8, v11
	v_mov_b32_e32 v0, s9
	v_add_co_u32_e64 v11, s[0:1], s8, v9
	v_add_u32_e32 v12, 0x16b, v15
	v_addc_co_u32_e64 v0, s[0:1], v0, v10, s[0:1]
	v_mad_u64_u32 v[9:10], s[0:1], s2, v12, 0
	v_add_co_u32_e64 v18, s[0:1], v11, v5
	v_addc_co_u32_e64 v34, s[0:1], v0, v6, s[0:1]
	v_mov_b32_e32 v0, v10
	v_add_u32_e32 v13, 0x2d6, v15
	v_lshlrev_b64 v[5:6], 2, v[7:8]
	v_mad_u64_u32 v[7:8], s[0:1], s3, v12, v[0:1]
	v_mad_u64_u32 v[11:12], s[0:1], s2, v13, 0
	v_add_co_u32_e64 v5, s[0:1], v18, v5
	v_mov_b32_e32 v10, v7
	v_mov_b32_e32 v0, v12
	v_add_u32_e32 v16, 0x79, v15
	v_addc_co_u32_e64 v6, s[0:1], v34, v6, s[0:1]
	v_lshlrev_b64 v[7:8], 2, v[9:10]
	v_mad_u64_u32 v[9:10], s[0:1], s3, v13, v[0:1]
	v_mad_u64_u32 v[13:14], s[0:1], s2, v16, 0
	v_add_co_u32_e64 v19, s[0:1], v18, v7
	v_mov_b32_e32 v12, v9
	v_mov_b32_e32 v0, v14
	v_addc_co_u32_e64 v20, s[0:1], v34, v8, s[0:1]
	v_lshlrev_b64 v[7:8], 2, v[11:12]
	v_mad_u64_u32 v[9:10], s[0:1], s3, v16, v[0:1]
	v_add_u32_e32 v12, 0x1e4, v15
	v_mad_u64_u32 v[10:11], s[0:1], s2, v12, 0
	v_add_co_u32_e64 v21, s[0:1], v18, v7
	v_mov_b32_e32 v0, v11
	v_addc_co_u32_e64 v22, s[0:1], v34, v8, s[0:1]
	v_mov_b32_e32 v14, v9
	v_mad_u64_u32 v[11:12], s[0:1], s3, v12, v[0:1]
	v_add_u32_e32 v9, 0x34f, v15
	v_lshlrev_b64 v[7:8], 2, v[13:14]
	v_mad_u64_u32 v[12:13], s[0:1], s2, v9, 0
	v_add_co_u32_e64 v23, s[0:1], v18, v7
	v_mov_b32_e32 v0, v13
	v_addc_co_u32_e64 v24, s[0:1], v34, v8, s[0:1]
	v_lshlrev_b64 v[7:8], 2, v[10:11]
	v_mad_u64_u32 v[9:10], s[0:1], s3, v9, v[0:1]
	v_add_u32_e32 v17, 0xf2, v15
	v_mad_u64_u32 v[10:11], s[0:1], s2, v17, 0
	v_add_co_u32_e64 v25, s[0:1], v18, v7
	v_mov_b32_e32 v13, v9
	v_mov_b32_e32 v0, v11
	v_addc_co_u32_e64 v26, s[0:1], v34, v8, s[0:1]
	v_lshlrev_b64 v[7:8], 2, v[12:13]
	v_mad_u64_u32 v[11:12], s[0:1], s3, v17, v[0:1]
	v_add_u32_e32 v9, 0x25d, v15
	v_mad_u64_u32 v[12:13], s[0:1], s2, v9, 0
	v_add_co_u32_e64 v27, s[0:1], v18, v7
	v_mov_b32_e32 v0, v13
	v_addc_co_u32_e64 v28, s[0:1], v34, v8, s[0:1]
	v_lshlrev_b64 v[7:8], 2, v[10:11]
	v_mad_u64_u32 v[9:10], s[0:1], s3, v9, v[0:1]
	v_add_u32_e32 v14, 0x3c8, v15
	v_mad_u64_u32 v[10:11], s[0:1], s2, v14, 0
	v_add_co_u32_e64 v29, s[0:1], v18, v7
	v_mov_b32_e32 v13, v9
	v_mov_b32_e32 v0, v11
	v_addc_co_u32_e64 v30, s[0:1], v34, v8, s[0:1]
	v_lshlrev_b64 v[7:8], 2, v[12:13]
	v_mad_u64_u32 v[11:12], s[0:1], s3, v14, v[0:1]
	v_add_co_u32_e64 v31, s[0:1], v18, v7
	v_addc_co_u32_e64 v32, s[0:1], v34, v8, s[0:1]
	v_lshlrev_b64 v[7:8], 2, v[10:11]
	v_add_co_u32_e64 v33, s[0:1], v18, v7
	v_addc_co_u32_e64 v34, s[0:1], v34, v8, s[0:1]
	global_load_dword v7, v[5:6], off
	global_load_dword v8, v[19:20], off
	;; [unrolled: 1-line block ×9, first 2 shown]
.LBB0_13:
	s_or_b64 exec, exec, s[6:7]
	s_waitcnt vmcnt(7)
	v_pk_add_f16 v0, v7, v8
	s_waitcnt vmcnt(6)
	v_pk_add_f16 v5, v0, v18
	v_pk_add_f16 v0, v8, v18
	v_pk_add_f16 v6, v8, v18 neg_lo:[0,1] neg_hi:[0,1]
	s_movk_i32 s0, 0x3aee
	v_pk_fma_f16 v0, v0, 0.5, v7 op_sel_hi:[1,0,1] neg_lo:[1,0,0] neg_hi:[1,0,0]
	v_pk_mul_f16 v6, v6, s0 op_sel_hi:[1,0]
	v_pk_add_f16 v7, v6, v0 op_sel:[1,0] op_sel_hi:[0,1]
	v_pk_add_f16 v6, v0, v6 op_sel:[0,1] op_sel_hi:[1,0] neg_lo:[0,1] neg_hi:[0,1]
	s_mov_b32 s1, 0xffff
	v_mad_u32_u24 v20, v15, 12, 0
	v_bfi_b32 v8, s1, v6, v7
	s_waitcnt vmcnt(4)
	v_pk_add_f16 v19, v9, v10
	ds_write2_b32 v20, v5, v8 offset1:1
	v_bfi_b32 v8, s1, v7, v6
	ds_write_b32 v20, v8 offset:8
	s_waitcnt vmcnt(3)
	v_pk_add_f16 v8, v19, v13
	v_pk_add_f16 v19, v10, v13
	v_pk_add_f16 v10, v10, v13 neg_lo:[0,1] neg_hi:[0,1]
	v_pk_fma_f16 v9, v19, 0.5, v9 op_sel_hi:[1,0,1] neg_lo:[1,0,0] neg_hi:[1,0,0]
	v_pk_mul_f16 v13, v10, s0 op_sel_hi:[1,0]
	v_pk_add_f16 v10, v13, v9 op_sel:[1,0] op_sel_hi:[0,1]
	v_pk_add_f16 v9, v9, v13 op_sel:[0,1] op_sel_hi:[1,0] neg_lo:[0,1] neg_hi:[0,1]
	v_mad_i32_i24 v18, v16, 12, 0
	v_bfi_b32 v13, s1, v9, v10
	s_waitcnt vmcnt(1)
	v_pk_add_f16 v21, v12, v14
	ds_write2_b32 v18, v8, v13 offset1:1
	v_bfi_b32 v13, s1, v10, v9
	s_load_dwordx2 s[4:5], s[4:5], 0x0
	ds_write_b32 v18, v13 offset:8
	s_waitcnt vmcnt(0)
	v_pk_add_f16 v13, v11, v21
	v_pk_add_f16 v18, v11, v12
	v_pk_add_f16 v11, v12, v11 neg_lo:[0,1] neg_hi:[0,1]
	v_pk_fma_f16 v14, v18, 0.5, v14 op_sel_hi:[1,0,1] neg_lo:[1,0,0] neg_hi:[1,0,0]
	v_pk_mul_f16 v12, v11, s0 op_sel_hi:[1,0]
	v_pk_add_f16 v11, v12, v14 op_sel:[1,0] op_sel_hi:[0,1]
	v_pk_add_f16 v14, v14, v12 op_sel:[0,1] op_sel_hi:[1,0] neg_lo:[0,1] neg_hi:[0,1]
	v_mad_i32_i24 v22, v17, 12, 0
	v_bfi_b32 v12, s1, v14, v11
	s_movk_i32 s0, 0x63
	v_lshrrev_b32_e32 v0, 16, v6
	v_lshrrev_b32_e32 v19, 16, v9
	;; [unrolled: 1-line block ×5, first 2 shown]
	ds_write2_b32 v22, v13, v12 offset1:1
	v_bfi_b32 v12, s1, v11, v14
	v_cmp_gt_u32_e64 s[0:1], s0, v15
	v_lshrrev_b32_e32 v27, 16, v11
	v_lshrrev_b32_e32 v33, 16, v10
	;; [unrolled: 1-line block ×3, first 2 shown]
	ds_write_b32 v22, v12 offset:8
	s_waitcnt lgkmcnt(0)
	s_barrier
	s_waitcnt lgkmcnt(0)
                                        ; implicit-def: $vgpr32
                                        ; implicit-def: $vgpr29
                                        ; implicit-def: $vgpr28
	s_and_saveexec_b64 s[2:3], s[0:1]
	s_cbranch_execz .LBB0_15
; %bb.14:
	v_lshlrev_b32_e32 v0, 3, v15
	v_sub_u32_e32 v0, v20, v0
	v_add_u32_e32 v7, 0x200, v0
	v_add_u32_e32 v9, 0x400, v0
	;; [unrolled: 1-line block ×3, first 2 shown]
	ds_read2_b32 v[5:6], v0 offset1:99
	ds_read2_b32 v[7:8], v7 offset0:70 offset1:169
	ds_read2_b32 v[11:12], v10 offset0:24 offset1:123
	;; [unrolled: 1-line block ×3, first 2 shown]
	ds_read_b32 v29, v0 offset:3960
	v_add_u32_e32 v0, 0x800, v0
	ds_read2_b32 v[13:14], v0 offset0:82 offset1:181
	s_waitcnt lgkmcnt(3)
	v_lshrrev_b32_e32 v18, 16, v11
	v_lshrrev_b32_e32 v28, 16, v12
	s_waitcnt lgkmcnt(1)
	v_lshrrev_b32_e32 v32, 16, v29
	v_lshrrev_b32_e32 v24, 16, v6
	;; [unrolled: 1-line block ×6, first 2 shown]
	s_waitcnt lgkmcnt(0)
	v_lshrrev_b32_e32 v26, 16, v13
	v_lshrrev_b32_e32 v27, 16, v14
.LBB0_15:
	s_or_b64 exec, exec, s[2:3]
	s_movk_i32 s2, 0xab
	v_mul_lo_u16_sdwa v20, v15, s2 dst_sel:DWORD dst_unused:UNUSED_PAD src0_sel:BYTE_0 src1_sel:DWORD
	v_lshrrev_b16_e32 v20, 9, v20
	v_mul_lo_u16_e32 v21, 3, v20
	v_sub_u16_e32 v21, v15, v21
	v_mov_b32_e32 v22, 10
	v_mul_u32_u24_sdwa v22, v21, v22 dst_sel:DWORD dst_unused:UNUSED_PAD src0_sel:BYTE_0 src1_sel:DWORD
	v_lshlrev_b32_e32 v22, 2, v22
	global_load_dwordx4 v[35:38], v22, s[12:13]
	global_load_dwordx4 v[39:42], v22, s[12:13] offset:16
	global_load_dwordx2 v[43:44], v22, s[12:13] offset:32
	s_movk_i32 s6, 0x3abb
	s_mov_b32 s8, 0xb853
	s_movk_i32 s7, 0x36a6
	s_mov_b32 s19, 0xbb47
	s_mov_b32 s9, 0xb93d
	;; [unrolled: 1-line block ×5, first 2 shown]
	s_movk_i32 s18, 0x3482
	s_mov_b32 s15, 0xb08e
	s_movk_i32 s22, 0x3beb
	s_mov_b32 s23, 0xb482
	s_movk_i32 s24, 0x3853
	s_waitcnt vmcnt(0)
	s_barrier
	v_mul_f16_sdwa v25, v23, v37 dst_sel:DWORD dst_unused:UNUSED_PAD src0_sel:DWORD src1_sel:WORD_1
	v_mul_f16_sdwa v46, v6, v35 dst_sel:DWORD dst_unused:UNUSED_PAD src0_sel:DWORD src1_sel:WORD_1
	;; [unrolled: 1-line block ×14, first 2 shown]
	v_fma_f16 v31, v8, v37, v25
	v_fma_f16 v25, v24, v35, -v46
	v_fma_f16 v32, v32, v44, -v61
	v_mul_f16_sdwa v48, v9, v38 dst_sel:DWORD dst_unused:UNUSED_PAD src0_sel:DWORD src1_sel:WORD_1
	v_mul_f16_sdwa v50, v19, v39 dst_sel:DWORD dst_unused:UNUSED_PAD src0_sel:DWORD src1_sel:WORD_1
	;; [unrolled: 1-line block ×4, first 2 shown]
	v_fma_f16 v30, v7, v36, v22
	v_fma_f16 v22, v0, v36, -v34
	v_fma_f16 v23, v23, v37, -v45
	v_fma_f16 v37, v6, v35, v47
	v_fma_f16 v35, v13, v40, v52
	;; [unrolled: 1-line block ×3, first 2 shown]
	v_fma_f16 v14, v26, v40, -v54
	v_fma_f16 v26, v27, v41, -v55
	;; [unrolled: 1-line block ×4, first 2 shown]
	v_fma_f16 v40, v29, v44, v60
	v_sub_f16_e32 v56, v25, v32
	v_add_f16_e32 v62, v25, v32
	v_mul_f16_sdwa v49, v33, v38 dst_sel:DWORD dst_unused:UNUSED_PAD src0_sel:DWORD src1_sel:WORD_1
	v_mul_f16_sdwa v57, v18, v42 dst_sel:DWORD dst_unused:UNUSED_PAD src0_sel:DWORD src1_sel:WORD_1
	v_fma_f16 v24, v33, v38, -v48
	v_fma_f16 v34, v10, v39, v50
	v_fma_f16 v13, v19, v39, -v51
	v_fma_f16 v39, v12, v43, v58
	v_add_f16_e32 v7, v37, v40
	v_sub_f16_e32 v55, v22, v28
	v_sub_f16_e32 v10, v37, v40
	v_add_f16_e32 v61, v22, v28
	v_mul_f16_e32 v45, 0xb853, v56
	v_mul_f16_e32 v48, 0x3abb, v62
	v_fma_f16 v33, v9, v38, v49
	v_fma_f16 v38, v11, v42, v57
	v_add_f16_e32 v8, v30, v39
	v_sub_f16_e32 v11, v30, v39
	v_mul_f16_e32 v44, 0xbb47, v55
	v_mul_f16_e32 v47, 0x36a6, v61
	;; [unrolled: 1-line block ×3, first 2 shown]
	v_fma_f16 v0, v7, s6, -v45
	v_fma_f16 v12, v10, s8, v48
	v_mul_f16_e32 v49, 0xba0c, v55
	v_fma_f16 v6, v8, s7, -v44
	v_fma_f16 v18, v11, s19, v47
	v_fma_f16 v19, v7, s7, -v50
	v_add_f16_e32 v0, v5, v0
	v_add_f16_sdwa v12, v5, v12 dst_sel:DWORD dst_unused:UNUSED_PAD src0_sel:WORD_1 src1_sel:DWORD
	v_add_f16_e32 v67, v23, v27
	v_sub_f16_e32 v57, v23, v27
	v_mul_f16_e32 v54, 0x36a6, v62
	v_fma_f16 v29, v8, s9, -v49
	v_add_f16_e32 v19, v5, v19
	v_add_f16_e32 v0, v6, v0
	;; [unrolled: 1-line block ×3, first 2 shown]
	v_sub_f16_e32 v12, v31, v38
	v_mul_f16_e32 v52, 0xb08e, v67
	v_add_f16_e32 v9, v31, v38
	v_mul_f16_e32 v53, 0xb93d, v61
	v_fma_f16 v41, v10, s19, v54
	v_add_f16_e32 v18, v29, v19
	v_fma_f16 v29, v12, s17, v52
	v_mul_f16_e32 v60, 0x3482, v57
	v_fma_f16 v42, v11, s14, v53
	v_add_f16_sdwa v41, v5, v41 dst_sel:DWORD dst_unused:UNUSED_PAD src0_sel:WORD_1 src1_sel:DWORD
	v_add_f16_e32 v6, v29, v6
	v_fma_f16 v29, v9, s16, -v60
	v_mul_f16_e32 v65, 0xbbad, v67
	v_mul_f16_e32 v46, 0xbbeb, v57
	v_add_f16_e32 v19, v42, v41
	v_add_f16_e32 v18, v29, v18
	v_fma_f16 v29, v12, s18, v65
	v_sub_f16_e32 v68, v24, v26
	v_fma_f16 v43, v9, s15, -v46
	v_add_f16_e32 v19, v29, v19
	v_add_f16_e32 v29, v33, v36
	v_mul_f16_e32 v51, 0xba0c, v68
	v_add_f16_e32 v0, v43, v0
	v_fma_f16 v41, v29, s9, -v51
	v_add_f16_e32 v72, v24, v26
	v_add_f16_e32 v0, v41, v0
	v_sub_f16_e32 v41, v33, v36
	v_mul_f16_e32 v59, 0xb93d, v72
	v_fma_f16 v42, v41, s14, v59
	v_mul_f16_e32 v63, 0x3beb, v68
	v_add_f16_e32 v6, v42, v6
	v_fma_f16 v42, v29, s15, -v63
	v_mul_f16_e32 v66, 0xb08e, v72
	v_sub_f16_e32 v71, v13, v14
	v_add_f16_e32 v74, v42, v18
	v_fma_f16 v18, v41, s22, v66
	v_add_f16_e32 v42, v34, v35
	v_mul_f16_e32 v58, 0xb482, v71
	v_add_f16_e32 v73, v13, v14
	v_add_f16_e32 v19, v18, v19
	v_fma_f16 v18, v42, s16, -v58
	v_sub_f16_e32 v43, v34, v35
	v_mul_f16_e32 v64, 0xbbad, v73
	v_add_f16_e32 v0, v18, v0
	v_fma_f16 v18, v43, s23, v64
	v_mul_f16_e32 v70, 0x3abb, v73
	v_add_f16_e32 v18, v18, v6
	v_fma_f16 v6, v43, s24, v70
	v_mul_f16_e32 v69, 0x3853, v71
	v_add_f16_e32 v19, v6, v19
	v_fma_f16 v6, v42, s6, -v69
	v_add_f16_e32 v6, v6, v74
	s_and_saveexec_b64 s[2:3], s[0:1]
	s_cbranch_execz .LBB0_17
; %bb.16:
	v_mul_f16_e32 v74, 0xbbad, v62
	v_fma_f16 v75, v10, s18, v74
	v_mul_f16_e32 v76, 0x3abb, v61
	v_add_f16_sdwa v75, v5, v75 dst_sel:DWORD dst_unused:UNUSED_PAD src0_sel:WORD_1 src1_sel:DWORD
	v_fma_f16 v77, v11, s8, v76
	v_add_f16_e32 v75, v77, v75
	v_mul_f16_e32 v77, 0xb93d, v67
	s_movk_i32 s25, 0x3a0c
	v_fma_f16 v78, v12, s25, v77
	v_add_f16_e32 v75, v78, v75
	v_mul_f16_e32 v78, 0x36a6, v72
	v_fma_f16 v79, v41, s19, v78
	v_add_f16_e32 v75, v79, v75
	v_mul_f16_e32 v79, 0xb08e, v73
	v_fma_f16 v80, v43, s22, v79
	v_add_f16_e32 v75, v80, v75
	v_mul_f16_e32 v80, 0xb482, v56
	v_fma_f16 v81, v7, s16, v80
	v_mul_f16_e32 v82, 0x3853, v55
	v_add_f16_e32 v81, v5, v81
	v_fma_f16 v83, v8, s6, v82
	v_add_f16_e32 v81, v83, v81
	v_mul_f16_e32 v83, 0xba0c, v57
	v_fma_f16 v84, v9, s9, v83
	v_add_f16_e32 v81, v84, v81
	v_mul_f16_e32 v84, 0x3b47, v68
	;; [unrolled: 3-line block ×4, first 2 shown]
	v_fma_f16 v87, v10, s25, v86
	v_mul_f16_e32 v88, 0xb08e, v61
	v_add_f16_sdwa v87, v5, v87 dst_sel:DWORD dst_unused:UNUSED_PAD src0_sel:WORD_1 src1_sel:DWORD
	v_fma_f16 v89, v11, s17, v88
	v_add_f16_e32 v87, v89, v87
	v_mul_f16_e32 v89, 0x3abb, v67
	v_fma_f16 v90, v12, s24, v89
	v_add_f16_e32 v87, v90, v87
	v_mul_f16_e32 v90, 0xbbad, v72
	v_fma_f16 v91, v41, s18, v90
	v_add_f16_e32 v87, v91, v87
	v_mul_f16_e32 v91, 0x36a6, v73
	v_fma_f16 v92, v43, s19, v91
	v_add_f16_e32 v87, v92, v87
	v_mul_f16_e32 v92, 0xba0c, v56
	v_fma_f16 v93, v7, s9, v92
	v_mul_f16_e32 v94, 0x3beb, v55
	v_add_f16_e32 v93, v5, v93
	v_fma_f16 v95, v8, s15, v94
	v_add_f16_e32 v93, v95, v93
	v_mul_f16_e32 v95, 0xb853, v57
	v_fma_f16 v96, v9, s6, v95
	v_add_f16_e32 v93, v96, v93
	v_mul_f16_e32 v96, 0xb482, v68
	;; [unrolled: 3-line block ×3, first 2 shown]
	v_fma_f16 v98, v42, s7, v97
	v_mul_f16_e32 v62, 0xb08e, v62
	v_add_f16_e32 v93, v98, v93
	v_fma_f16 v98, v10, s22, v62
	v_mul_f16_e32 v61, 0xbbad, v61
	v_add_f16_sdwa v98, v5, v98 dst_sel:DWORD dst_unused:UNUSED_PAD src0_sel:WORD_1 src1_sel:DWORD
	v_fma_f16 v99, v11, s23, v61
	v_mul_f16_e32 v67, 0x36a6, v67
	v_add_f16_e32 v98, v99, v98
	v_fma_f16 v99, v12, s19, v67
	v_mul_f16_e32 v72, 0x3abb, v72
	v_add_f16_e32 v98, v99, v98
	;; [unrolled: 3-line block ×8, first 2 shown]
	v_fma_f16 v100, v42, s9, v71
	v_add_f16_e32 v99, v100, v99
	v_mul_f16_e32 v100, 0xbb47, v10
	v_sub_f16_e32 v54, v54, v100
	v_mul_f16_e32 v100, 0xba0c, v11
	v_sub_f16_e32 v53, v53, v100
	v_add_f16_sdwa v54, v5, v54 dst_sel:DWORD dst_unused:UNUSED_PAD src0_sel:WORD_1 src1_sel:DWORD
	v_add_f16_e32 v53, v53, v54
	v_mul_f16_e32 v54, 0x3482, v12
	v_sub_f16_e32 v54, v65, v54
	v_add_f16_e32 v53, v54, v53
	v_mul_f16_e32 v54, 0x3beb, v41
	v_sub_f16_e32 v54, v66, v54
	;; [unrolled: 3-line block ×3, first 2 shown]
	v_add_f16_e32 v53, v54, v53
	v_mul_f16_e32 v54, 0x36a6, v7
	v_add_f16_e32 v50, v54, v50
	v_mul_f16_e32 v54, 0xb93d, v8
	v_add_f16_e32 v49, v54, v49
	v_add_f16_e32 v50, v5, v50
	v_add_f16_sdwa v25, v5, v25 dst_sel:DWORD dst_unused:UNUSED_PAD src0_sel:WORD_1 src1_sel:DWORD
	v_add_f16_e32 v49, v49, v50
	v_mul_f16_e32 v50, 0xbbad, v9
	v_add_f16_e32 v22, v25, v22
	v_add_f16_e32 v50, v50, v60
	;; [unrolled: 1-line block ×4, first 2 shown]
	v_mul_f16_e32 v50, 0xb08e, v29
	v_add_f16_e32 v22, v22, v24
	v_add_f16_e32 v50, v50, v63
	;; [unrolled: 1-line block ×4, first 2 shown]
	v_mul_f16_e32 v50, 0x3abb, v42
	v_add_f16_e32 v13, v13, v14
	v_fma_f16 v14, v10, s23, v74
	v_add_f16_e32 v50, v50, v69
	v_add_f16_sdwa v14, v5, v14 dst_sel:DWORD dst_unused:UNUSED_PAD src0_sel:WORD_1 src1_sel:DWORD
	v_fma_f16 v22, v11, s24, v76
	v_add_f16_e32 v49, v50, v49
	v_mul_f16_e32 v50, 0xb853, v10
	s_movk_i32 s19, 0x3b47
	v_add_f16_e32 v14, v22, v14
	v_fma_f16 v22, v12, s14, v77
	v_sub_f16_e32 v48, v48, v50
	v_mul_f16_e32 v50, 0xbb47, v11
	v_add_f16_e32 v14, v22, v14
	v_fma_f16 v22, v41, s19, v78
	v_sub_f16_e32 v47, v47, v50
	v_add_f16_sdwa v48, v5, v48 dst_sel:DWORD dst_unused:UNUSED_PAD src0_sel:WORD_1 src1_sel:DWORD
	v_add_f16_e32 v14, v22, v14
	v_fma_f16 v22, v43, s17, v79
	v_add_f16_e32 v47, v47, v48
	v_mul_f16_e32 v48, 0xbbeb, v12
	v_add_f16_e32 v14, v22, v14
	v_fma_f16 v22, v7, s16, -v80
	v_sub_f16_e32 v48, v52, v48
	v_add_f16_e32 v22, v5, v22
	v_fma_f16 v23, v8, s6, -v82
	v_add_f16_e32 v47, v48, v47
	v_mul_f16_e32 v48, 0xba0c, v41
	v_add_f16_e32 v22, v23, v22
	v_fma_f16 v23, v9, s9, -v83
	v_sub_f16_e32 v48, v59, v48
	v_add_f16_e32 v22, v23, v22
	v_fma_f16 v23, v29, s7, -v84
	v_add_f16_e32 v47, v48, v47
	v_mul_f16_e32 v48, 0xb482, v43
	v_add_f16_e32 v22, v23, v22
	v_fma_f16 v23, v42, s15, -v85
	v_sub_f16_e32 v48, v64, v48
	v_add_f16_e32 v22, v23, v22
	v_fma_f16 v23, v10, s14, v86
	v_add_f16_e32 v47, v48, v47
	v_mul_f16_e32 v48, 0x3abb, v7
	v_add_f16_e32 v37, v5, v37
	v_add_f16_sdwa v23, v5, v23 dst_sel:DWORD dst_unused:UNUSED_PAD src0_sel:WORD_1 src1_sel:DWORD
	v_fma_f16 v24, v11, s22, v88
	v_add_f16_e32 v45, v48, v45
	v_mul_f16_e32 v48, 0x36a6, v8
	v_add_f16_e32 v30, v37, v30
	v_add_f16_e32 v23, v24, v23
	v_fma_f16 v24, v12, s8, v89
	v_add_f16_e32 v44, v48, v44
	v_add_f16_e32 v45, v5, v45
	;; [unrolled: 1-line block ×4, first 2 shown]
	v_fma_f16 v24, v41, s23, v90
	v_add_f16_e32 v44, v44, v45
	v_mul_f16_e32 v45, 0xb08e, v9
	v_add_f16_e32 v30, v30, v33
	v_add_f16_e32 v23, v24, v23
	v_fma_f16 v24, v43, s19, v91
	v_add_f16_e32 v45, v45, v46
	v_add_f16_e32 v30, v30, v34
	;; [unrolled: 1-line block ×3, first 2 shown]
	v_fma_f16 v24, v7, s9, -v92
	v_fma_f16 v10, v10, s17, v62
	v_fma_f16 v7, v7, s15, -v56
	v_add_f16_e32 v44, v45, v44
	v_mul_f16_e32 v45, 0xb93d, v29
	v_add_f16_e32 v30, v30, v35
	v_add_f16_e32 v24, v5, v24
	v_add_f16_sdwa v10, v5, v10 dst_sel:DWORD dst_unused:UNUSED_PAD src0_sel:WORD_1 src1_sel:DWORD
	v_add_f16_e32 v5, v5, v7
	v_fma_f16 v7, v8, s16, -v55
	v_add_f16_e32 v45, v45, v51
	v_add_f16_e32 v30, v30, v36
	;; [unrolled: 1-line block ×4, first 2 shown]
	v_fma_f16 v7, v9, s7, -v57
	v_add_f16_e32 v44, v45, v44
	v_mul_f16_e32 v45, 0xbbad, v42
	v_add_f16_e32 v30, v30, v38
	v_add_f16_e32 v13, v13, v27
	;; [unrolled: 1-line block ×3, first 2 shown]
	v_fma_f16 v7, v29, s6, -v68
	v_add_f16_e32 v45, v45, v58
	v_add_f16_e32 v30, v30, v39
	;; [unrolled: 1-line block ×3, first 2 shown]
	v_fma_f16 v25, v8, s15, -v94
	v_add_f16_e32 v5, v7, v5
	v_fma_f16 v7, v42, s9, -v71
	v_mov_b32_e32 v8, 2
	v_add_f16_e32 v44, v45, v44
	v_add_f16_e32 v30, v30, v40
	;; [unrolled: 1-line block ×4, first 2 shown]
	v_fma_f16 v25, v9, s6, -v95
	v_fma_f16 v11, v11, s18, v61
	v_add_f16_e32 v5, v7, v5
	v_mul_u32_u24_e32 v7, 0x84, v20
	v_lshlrev_b32_sdwa v8, v8, v21 dst_sel:DWORD dst_unused:UNUSED_PAD src0_sel:DWORD src1_sel:BYTE_0
	v_add_f16_e32 v24, v25, v24
	v_fma_f16 v25, v29, s16, -v96
	v_add_f16_e32 v10, v11, v10
	v_fma_f16 v11, v12, s19, v67
	v_add3_u32 v7, 0, v7, v8
	v_pack_b32_f16 v8, v30, v13
	v_pack_b32_f16 v9, v44, v47
	v_add_f16_e32 v24, v25, v24
	v_fma_f16 v25, v42, s7, -v97
	v_add_f16_e32 v10, v11, v10
	v_fma_f16 v11, v41, s8, v72
	ds_write2_b32 v7, v8, v9 offset1:3
	v_pack_b32_f16 v8, v49, v53
	v_pack_b32_f16 v9, v99, v98
	v_add_f16_e32 v24, v25, v24
	v_add_f16_e32 v10, v11, v10
	v_fma_f16 v11, v43, s14, v73
	ds_write2_b32 v7, v8, v9 offset0:6 offset1:9
	v_pack_b32_f16 v8, v93, v87
	v_pack_b32_f16 v9, v81, v75
	v_add_f16_e32 v10, v11, v10
	ds_write2_b32 v7, v8, v9 offset0:12 offset1:15
	v_pack_b32_f16 v8, v22, v14
	v_pack_b32_f16 v9, v24, v23
	s_mov_b32 s6, 0x5040100
	ds_write2_b32 v7, v8, v9 offset0:18 offset1:21
	v_pack_b32_f16 v5, v5, v10
	v_perm_b32 v8, v19, v6, s6
	ds_write2_b32 v7, v5, v8 offset0:24 offset1:27
	v_perm_b32 v5, v18, v0, s6
	ds_write_b32 v7, v5 offset:120
.LBB0_17:
	s_or_b64 exec, exec, s[2:3]
	s_movk_i32 s2, 0xf9
	v_mul_lo_u16_sdwa v5, v15, s2 dst_sel:DWORD dst_unused:UNUSED_PAD src0_sel:BYTE_0 src1_sel:DWORD
	v_mul_lo_u16_sdwa v8, v16, s2 dst_sel:DWORD dst_unused:UNUSED_PAD src0_sel:BYTE_0 src1_sel:DWORD
	v_lshrrev_b16_e32 v31, 13, v5
	v_lshrrev_b16_e32 v33, 13, v8
	v_mul_lo_u16_e32 v5, 33, v31
	v_mul_lo_u16_e32 v8, 33, v33
	s_mov_b32 s2, 0xf83f
	v_sub_u16_e32 v32, v15, v5
	v_mov_b32_e32 v5, 3
	v_sub_u16_e32 v34, v16, v8
	v_mul_u32_u24_sdwa v9, v17, s2 dst_sel:DWORD dst_unused:UNUSED_PAD src0_sel:WORD_0 src1_sel:DWORD
	v_lshlrev_b32_sdwa v7, v5, v32 dst_sel:DWORD dst_unused:UNUSED_PAD src0_sel:DWORD src1_sel:BYTE_0
	v_lshlrev_b32_sdwa v5, v5, v34 dst_sel:DWORD dst_unused:UNUSED_PAD src0_sel:DWORD src1_sel:BYTE_0
	v_lshrrev_b32_e32 v35, 21, v9
	s_waitcnt lgkmcnt(0)
	s_barrier
	global_load_dwordx2 v[7:8], v7, s[12:13] offset:120
	v_lshl_add_u32 v27, v15, 2, 0
	global_load_dwordx2 v[9:10], v5, s[12:13] offset:120
	v_mul_lo_u16_e32 v5, 33, v35
	v_sub_u16_e32 v36, v17, v5
	v_lshlrev_b32_e32 v5, 3, v36
	global_load_dwordx2 v[11:12], v5, s[12:13] offset:120
	v_lshl_add_u32 v5, v16, 2, 0
	v_lshl_add_u32 v13, v17, 2, 0
	v_add_u32_e32 v28, 0x400, v27
	v_add_u32_e32 v29, 0x800, v27
	;; [unrolled: 1-line block ×3, first 2 shown]
	ds_read_b32 v22, v27
	ds_read_b32 v5, v5
	;; [unrolled: 1-line block ×3, first 2 shown]
	ds_read2_b32 v[13:14], v28 offset0:107 offset1:228
	ds_read2_b32 v[16:17], v30 offset0:79 offset1:200
	;; [unrolled: 1-line block ×3, first 2 shown]
	s_waitcnt lgkmcnt(5)
	v_lshrrev_b32_e32 v23, 16, v22
	s_mov_b32 s2, 0xbaee
	s_waitcnt lgkmcnt(2)
	v_lshrrev_b32_e32 v38, 16, v13
	v_lshrrev_b32_e32 v40, 16, v14
	s_waitcnt lgkmcnt(0)
	v_lshrrev_b32_e32 v39, 16, v21
	v_lshrrev_b32_e32 v41, 16, v16
	;; [unrolled: 1-line block ×4, first 2 shown]
	s_movk_i32 s3, 0x3aee
	v_lshrrev_b32_e32 v25, 16, v5
	v_lshrrev_b32_e32 v26, 16, v24
	v_mul_u32_u24_e32 v31, 0x18c, v31
	s_waitcnt vmcnt(0)
	s_barrier
	v_mul_f16_sdwa v43, v7, v38 dst_sel:DWORD dst_unused:UNUSED_PAD src0_sel:WORD_1 src1_sel:DWORD
	v_mul_f16_sdwa v44, v7, v13 dst_sel:DWORD dst_unused:UNUSED_PAD src0_sel:WORD_1 src1_sel:DWORD
	;; [unrolled: 1-line block ×8, first 2 shown]
	v_mul_f16_sdwa v53, v37, v12 dst_sel:DWORD dst_unused:UNUSED_PAD src0_sel:DWORD src1_sel:WORD_1
	v_mul_f16_sdwa v54, v17, v12 dst_sel:DWORD dst_unused:UNUSED_PAD src0_sel:DWORD src1_sel:WORD_1
	v_fma_f16 v13, v7, v13, v43
	v_fma_f16 v7, v7, v38, -v44
	v_fma_f16 v21, v8, v21, v45
	v_fma_f16 v8, v8, v39, -v46
	v_fma_f16 v14, v9, v14, v47
	v_fma_f16 v39, v10, v16, v49
	v_mul_f16_sdwa v51, v11, v42 dst_sel:DWORD dst_unused:UNUSED_PAD src0_sel:WORD_1 src1_sel:DWORD
	v_mul_f16_sdwa v52, v11, v20 dst_sel:DWORD dst_unused:UNUSED_PAD src0_sel:WORD_1 src1_sel:DWORD
	v_fma_f16 v38, v9, v40, -v48
	v_fma_f16 v40, v10, v41, -v50
	v_fma_f16 v43, v17, v12, v53
	v_fma_f16 v37, v37, v12, -v54
	v_add_f16_e32 v9, v22, v13
	v_add_f16_e32 v10, v13, v21
	;; [unrolled: 1-line block ×5, first 2 shown]
	v_fma_f16 v41, v11, v20, v51
	v_fma_f16 v42, v11, v42, -v52
	v_sub_f16_e32 v11, v7, v8
	v_sub_f16_e32 v13, v13, v21
	v_add_f16_e32 v20, v5, v14
	v_sub_f16_e32 v45, v38, v40
	v_add_f16_e32 v7, v9, v21
	v_fma_f16 v9, v10, -0.5, v22
	v_add_f16_e32 v16, v12, v8
	v_fma_f16 v12, v17, -0.5, v23
	v_fma_f16 v5, v44, -0.5, v5
	v_add_f16_e32 v10, v20, v39
	v_fma_f16 v8, v11, s2, v9
	v_fma_f16 v9, v11, s3, v9
	;; [unrolled: 1-line block ×6, first 2 shown]
	v_add_f16_e32 v5, v25, v38
	v_add_f16_e32 v21, v5, v40
	v_add_f16_e32 v5, v38, v40
	v_fma_f16 v5, v5, -0.5, v25
	v_sub_f16_e32 v13, v14, v39
	v_fma_f16 v23, v13, s3, v5
	v_fma_f16 v22, v13, s2, v5
	v_add_f16_e32 v5, v24, v41
	v_add_f16_e32 v13, v5, v43
	v_add_f16_e32 v5, v41, v43
	v_fma_f16 v5, v5, -0.5, v24
	v_sub_f16_e32 v24, v42, v37
	v_fma_f16 v14, v24, s2, v5
	v_fma_f16 v5, v24, s3, v5
	;; [unrolled: 7-line block ×3, first 2 shown]
	v_mov_b32_e32 v37, 2
	v_lshlrev_b32_sdwa v32, v37, v32 dst_sel:DWORD dst_unused:UNUSED_PAD src0_sel:DWORD src1_sel:BYTE_0
	v_add3_u32 v31, 0, v31, v32
	v_pack_b32_f16 v32, v7, v16
	v_pack_b32_f16 v38, v8, v20
	ds_write2_b32 v31, v32, v38 offset1:33
	v_pack_b32_f16 v32, v9, v17
	ds_write_b32 v31, v32 offset:264
	v_mul_u32_u24_e32 v31, 0x18c, v33
	v_lshlrev_b32_sdwa v32, v37, v34 dst_sel:DWORD dst_unused:UNUSED_PAD src0_sel:DWORD src1_sel:BYTE_0
	v_add3_u32 v31, 0, v31, v32
	v_pack_b32_f16 v32, v10, v21
	v_pack_b32_f16 v33, v11, v23
	ds_write2_b32 v31, v32, v33 offset1:33
	v_pack_b32_f16 v32, v12, v22
	ds_write_b32 v31, v32 offset:264
	v_mul_u32_u24_e32 v31, 0x18c, v35
	v_lshlrev_b32_e32 v32, 2, v36
	v_add3_u32 v31, 0, v31, v32
	v_pack_b32_f16 v32, v13, v25
	v_pack_b32_f16 v33, v14, v26
	ds_write2_b32 v31, v32, v33 offset1:33
	v_pack_b32_f16 v32, v5, v24
	ds_write_b32 v31, v32 offset:264
	s_waitcnt lgkmcnt(0)
	s_barrier
	s_and_saveexec_b64 s[2:3], s[0:1]
	s_cbranch_execz .LBB0_19
; %bb.18:
	v_add_u32_e32 v9, 0x200, v27
	ds_read2_b32 v[7:8], v27 offset1:99
	ds_read2_b32 v[5:6], v30 offset0:24 offset1:123
	ds_read_b32 v0, v27 offset:3960
	ds_read2_b32 v[9:10], v9 offset0:70 offset1:169
	ds_read2_b32 v[11:12], v28 offset0:140 offset1:239
	;; [unrolled: 1-line block ×3, first 2 shown]
	s_waitcnt lgkmcnt(4)
	v_lshrrev_b32_e32 v24, 16, v5
	v_lshrrev_b32_e32 v16, 16, v7
	;; [unrolled: 1-line block ×3, first 2 shown]
	s_waitcnt lgkmcnt(3)
	v_lshrrev_b32_e32 v18, 16, v0
	v_lshrrev_b32_e32 v20, 16, v8
	s_waitcnt lgkmcnt(2)
	v_lshrrev_b32_e32 v17, 16, v9
	v_lshrrev_b32_e32 v21, 16, v10
	;; [unrolled: 3-line block ×4, first 2 shown]
.LBB0_19:
	s_or_b64 exec, exec, s[2:3]
	s_movk_i32 s2, 0x63
	v_cmp_gt_u32_e64 s[2:3], s2, v15
	s_and_b64 s[2:3], vcc, s[2:3]
	s_and_saveexec_b64 s[6:7], s[2:3]
	s_cbranch_execz .LBB0_21
; %bb.20:
	v_add_u32_e32 v27, 0xffffff9d, v15
	v_cndmask_b32_e64 v27, v27, v15, s[0:1]
	v_mul_i32_i24_e32 v27, 10, v27
	v_mov_b32_e32 v28, 0
	v_lshlrev_b64 v[27:28], 2, v[27:28]
	v_mov_b32_e32 v29, s13
	v_add_co_u32_e32 v35, vcc, s12, v27
	v_addc_co_u32_e32 v36, vcc, v29, v28, vcc
	global_load_dwordx2 v[37:38], v[35:36], off offset:416
	global_load_dwordx4 v[27:30], v[35:36], off offset:384
	global_load_dwordx4 v[31:34], v[35:36], off offset:400
	v_mul_lo_u32 v35, s5, v3
	v_mul_lo_u32 v36, s4, v4
	v_mad_u64_u32 v[3:4], s[0:1], s4, v3, 0
	s_movk_i32 s5, 0x3482
	s_mov_b32 s3, 0xb853
	v_add3_u32 v4, v4, v36, v35
	s_movk_i32 s13, 0x3a0c
	s_mov_b32 s7, 0xbb47
	s_movk_i32 s9, 0x3beb
	s_mov_b32 s0, 0xbbad
	;; [unrolled: 2-line block ×4, first 2 shown]
	s_mov_b32 s15, 0xbbeb
	s_movk_i32 s14, 0x3853
	s_mov_b32 s8, 0xb482
	s_mov_b32 s12, 0xba0c
	s_movk_i32 s16, 0x3b47
	v_lshlrev_b64 v[3:4], 2, v[3:4]
	v_add_co_u32_e32 v3, vcc, s10, v3
	s_waitcnt vmcnt(2)
	v_mul_f16_sdwa v35, v0, v38 dst_sel:DWORD dst_unused:UNUSED_PAD src0_sel:DWORD src1_sel:WORD_1
	s_waitcnt vmcnt(1)
	v_mul_f16_sdwa v36, v8, v27 dst_sel:DWORD dst_unused:UNUSED_PAD src0_sel:DWORD src1_sel:WORD_1
	v_mul_f16_sdwa v39, v20, v27 dst_sel:DWORD dst_unused:UNUSED_PAD src0_sel:DWORD src1_sel:WORD_1
	;; [unrolled: 1-line block ×5, first 2 shown]
	v_fma_f16 v18, v18, v38, -v35
	v_fma_f16 v20, v20, v27, -v36
	v_mul_f16_sdwa v43, v17, v28 dst_sel:DWORD dst_unused:UNUSED_PAD src0_sel:DWORD src1_sel:WORD_1
	v_mul_f16_sdwa v44, v19, v37 dst_sel:DWORD dst_unused:UNUSED_PAD src0_sel:DWORD src1_sel:WORD_1
	s_waitcnt vmcnt(0)
	v_mul_f16_sdwa v45, v5, v34 dst_sel:DWORD dst_unused:UNUSED_PAD src0_sel:DWORD src1_sel:WORD_1
	v_mul_f16_sdwa v46, v10, v29 dst_sel:DWORD dst_unused:UNUSED_PAD src0_sel:DWORD src1_sel:WORD_1
	v_mul_f16_sdwa v47, v21, v29 dst_sel:DWORD dst_unused:UNUSED_PAD src0_sel:DWORD src1_sel:WORD_1
	v_fma_f16 v8, v8, v27, v39
	v_fma_f16 v0, v0, v38, v40
	v_fma_f16 v19, v19, v37, -v41
	v_fma_f16 v17, v17, v28, -v42
	v_add_f16_e32 v27, v18, v20
	v_mul_f16_sdwa v48, v24, v34 dst_sel:DWORD dst_unused:UNUSED_PAD src0_sel:DWORD src1_sel:WORD_1
	v_mul_f16_sdwa v49, v14, v33 dst_sel:DWORD dst_unused:UNUSED_PAD src0_sel:DWORD src1_sel:WORD_1
	;; [unrolled: 1-line block ×6, first 2 shown]
	v_fma_f16 v9, v9, v28, v43
	v_fma_f16 v6, v6, v37, v44
	v_fma_f16 v24, v24, v34, -v45
	v_fma_f16 v21, v21, v29, -v46
	v_fma_f16 v10, v10, v29, v47
	v_sub_f16_e32 v28, v8, v0
	v_add_f16_e32 v29, v19, v17
	v_mul_f16_e32 v39, 0xbbad, v27
	v_mul_f16_sdwa v52, v26, v33 dst_sel:DWORD dst_unused:UNUSED_PAD src0_sel:DWORD src1_sel:WORD_1
	v_mul_f16_sdwa v53, v13, v32 dst_sel:DWORD dst_unused:UNUSED_PAD src0_sel:DWORD src1_sel:WORD_1
	;; [unrolled: 1-line block ×3, first 2 shown]
	v_fma_f16 v5, v5, v34, v48
	v_fma_f16 v26, v26, v33, -v49
	v_fma_f16 v23, v23, v30, -v50
	v_fma_f16 v11, v11, v30, v51
	v_fma_f16 v22, v22, v31, -v54
	v_fma_f16 v12, v12, v31, v55
	v_sub_f16_e32 v30, v9, v6
	v_add_f16_e32 v31, v24, v21
	v_mul_f16_e32 v40, 0x3abb, v29
	v_fma_f16 v44, v28, s5, v39
	v_fma_f16 v14, v14, v33, v52
	v_fma_f16 v25, v25, v32, -v53
	v_fma_f16 v13, v13, v32, v56
	v_sub_f16_e32 v32, v10, v5
	v_add_f16_e32 v33, v26, v23
	v_mul_f16_e32 v41, 0xb93d, v31
	v_fma_f16 v45, v30, s3, v40
	v_add_f16_e32 v44, v16, v44
	v_sub_f16_e32 v34, v11, v14
	v_add_f16_e32 v35, v25, v22
	v_mul_f16_e32 v42, 0x36a6, v33
	v_fma_f16 v46, v32, s13, v41
	v_add_f16_e32 v44, v44, v45
	v_sub_f16_e32 v36, v12, v13
	v_mul_f16_e32 v43, 0xb08e, v35
	v_fma_f16 v47, v34, s7, v42
	v_add_f16_e32 v44, v44, v46
	v_sub_f16_e32 v38, v20, v18
	v_fma_f16 v48, v36, s9, v43
	v_add_f16_e32 v44, v44, v47
	v_add_f16_e32 v37, v0, v8
	;; [unrolled: 1-line block ×3, first 2 shown]
	v_mul_f16_e32 v45, 0xb482, v38
	v_sub_f16_e32 v48, v17, v19
	v_fma_f16 v46, v37, s0, v45
	v_add_f16_e32 v47, v6, v9
	v_mul_f16_e32 v49, 0x3853, v48
	v_add_f16_e32 v46, v7, v46
	v_fma_f16 v50, v47, s2, v49
	v_sub_f16_e32 v51, v21, v24
	v_add_f16_e32 v46, v46, v50
	v_add_f16_e32 v50, v5, v10
	v_mul_f16_e32 v52, 0xba0c, v51
	v_fma_f16 v53, v50, s1, v52
	v_sub_f16_e32 v54, v23, v26
	v_add_f16_e32 v46, v46, v53
	v_add_f16_e32 v53, v14, v11
	v_mul_f16_e32 v55, 0x3b47, v54
	v_add_f16_e32 v8, v7, v8
	v_fma_f16 v56, v53, s4, v55
	v_sub_f16_e32 v57, v22, v25
	v_add_f16_e32 v8, v8, v9
	v_add_f16_e32 v46, v46, v56
	;; [unrolled: 1-line block ×3, first 2 shown]
	v_mul_f16_e32 v58, 0xbbeb, v57
	v_add_f16_e32 v8, v8, v10
	v_fma_f16 v59, v56, s6, v58
	v_add_f16_e32 v8, v8, v11
	v_add_f16_e32 v46, v46, v59
	v_mul_f16_e32 v59, 0xb93d, v27
	v_add_f16_e32 v8, v8, v12
	v_fma_f16 v60, v28, s13, v59
	v_mul_f16_e32 v61, 0xb08e, v29
	v_add_f16_e32 v8, v13, v8
	v_add_f16_e32 v60, v16, v60
	v_fma_f16 v62, v30, s15, v61
	v_add_f16_e32 v8, v14, v8
	v_add_f16_e32 v60, v60, v62
	v_mul_f16_e32 v62, 0x3abb, v31
	v_add_f16_e32 v5, v5, v8
	v_fma_f16 v63, v32, s14, v62
	v_add_f16_e32 v5, v6, v5
	v_add_f16_e32 v60, v60, v63
	v_mul_f16_e32 v63, 0xbbad, v33
	v_add_f16_e32 v8, v0, v5
	v_add_f16_e32 v0, v16, v20
	v_fma_f16 v64, v34, s5, v63
	v_add_f16_e32 v0, v0, v17
	v_add_f16_e32 v60, v60, v64
	v_mul_f16_e32 v64, 0x36a6, v35
	v_add_f16_e32 v0, v0, v21
	v_fma_f16 v65, v36, s7, v64
	v_add_f16_e32 v0, v0, v23
	v_add_f16_e32 v60, v60, v65
	v_mul_f16_e32 v65, 0xba0c, v38
	v_add_f16_e32 v0, v0, v22
	v_fma_f16 v66, v37, s1, v65
	v_mul_f16_e32 v67, 0x3beb, v48
	v_add_f16_e32 v0, v25, v0
	v_add_f16_e32 v66, v7, v66
	v_fma_f16 v68, v47, s6, v67
	v_add_f16_e32 v0, v26, v0
	v_add_f16_e32 v66, v66, v68
	v_mul_f16_e32 v68, 0xb853, v51
	v_add_f16_e32 v0, v24, v0
	v_fma_f16 v69, v50, s2, v68
	v_add_f16_e32 v0, v19, v0
	v_add_f16_e32 v66, v66, v69
	v_mul_f16_e32 v69, 0xb482, v54
	v_add_f16_e32 v9, v18, v0
	v_fma_f16 v0, v28, s8, v39
	v_fma_f16 v70, v53, s0, v69
	v_add_f16_e32 v0, v16, v0
	v_fma_f16 v5, v30, s14, v40
	v_add_f16_e32 v66, v66, v70
	v_mul_f16_e32 v70, 0x3b47, v57
	v_add_f16_e32 v0, v0, v5
	v_fma_f16 v5, v32, s12, v41
	v_fma_f16 v71, v56, s4, v70
	v_add_f16_e32 v0, v0, v5
	v_fma_f16 v5, v34, s16, v42
	v_add_f16_e32 v66, v66, v71
	v_mul_f16_e32 v71, 0xb08e, v27
	v_add_f16_e32 v0, v0, v5
	v_fma_f16 v5, v36, s15, v43
	v_fma_f16 v72, v28, s9, v71
	v_mul_f16_e32 v73, 0xbbad, v29
	v_add_f16_e32 v10, v0, v5
	v_fma_f16 v0, v37, s0, -v45
	v_add_f16_e32 v72, v16, v72
	v_fma_f16 v74, v30, s8, v73
	v_add_f16_e32 v0, v7, v0
	v_fma_f16 v5, v47, s2, -v49
	v_add_f16_e32 v72, v72, v74
	v_mul_f16_e32 v74, 0x36a6, v31
	v_add_f16_e32 v0, v0, v5
	v_fma_f16 v5, v50, s1, -v52
	v_fma_f16 v75, v32, s7, v74
	v_add_f16_e32 v0, v0, v5
	v_fma_f16 v5, v53, s4, -v55
	v_add_f16_e32 v72, v72, v75
	v_mul_f16_e32 v75, 0x3abb, v33
	v_add_f16_e32 v0, v0, v5
	v_fma_f16 v5, v56, s6, -v58
	v_fma_f16 v76, v34, s14, v75
	v_add_f16_e32 v11, v0, v5
	v_fma_f16 v0, v28, s12, v59
	v_add_f16_e32 v72, v72, v76
	v_mul_f16_e32 v76, 0xb93d, v35
	v_add_f16_e32 v0, v16, v0
	v_fma_f16 v5, v30, s9, v61
	v_fma_f16 v77, v36, s13, v76
	v_add_f16_e32 v0, v0, v5
	v_fma_f16 v5, v32, s3, v62
	v_add_f16_e32 v72, v72, v77
	v_mul_f16_e32 v77, 0xbbeb, v38
	v_add_f16_e32 v0, v0, v5
	v_fma_f16 v5, v34, s8, v63
	v_fma_f16 v78, v37, s6, v77
	v_mul_f16_e32 v79, 0x3482, v48
	v_add_f16_e32 v0, v0, v5
	v_fma_f16 v5, v36, s16, v64
	v_add_f16_e32 v78, v7, v78
	v_fma_f16 v80, v47, s0, v79
	v_add_f16_e32 v12, v0, v5
	v_fma_f16 v0, v37, s1, -v65
	v_add_f16_e32 v78, v78, v80
	v_mul_f16_e32 v80, 0x3b47, v51
	v_add_f16_e32 v0, v7, v0
	v_fma_f16 v5, v47, s6, -v67
	v_fma_f16 v81, v50, s4, v80
	v_add_f16_e32 v0, v0, v5
	v_fma_f16 v5, v50, s2, -v68
	v_add_f16_e32 v78, v78, v81
	v_mul_f16_e32 v81, 0xb853, v54
	v_add_f16_e32 v0, v0, v5
	v_fma_f16 v5, v53, s0, -v69
	v_fma_f16 v82, v53, s2, v81
	v_add_f16_e32 v0, v0, v5
	v_fma_f16 v5, v56, s4, -v70
	v_add_f16_e32 v78, v78, v82
	v_mul_f16_e32 v82, 0xba0c, v57
	v_add_f16_e32 v13, v0, v5
	v_fma_f16 v0, v28, s15, v71
	v_fma_f16 v83, v56, s1, v82
	v_add_f16_e32 v0, v16, v0
	v_fma_f16 v5, v30, s5, v73
	v_add_f16_e32 v78, v78, v83
	v_mul_f16_e32 v83, 0x36a6, v27
	v_add_f16_e32 v0, v0, v5
	v_fma_f16 v5, v32, s16, v74
	v_fma_f16 v84, v28, s16, v83
	v_mul_f16_e32 v85, 0xb93d, v29
	v_add_f16_e32 v0, v0, v5
	v_fma_f16 v5, v34, s3, v75
	v_add_f16_e32 v84, v16, v84
	v_fma_f16 v86, v30, s13, v85
	v_add_f16_e32 v0, v0, v5
	v_fma_f16 v5, v36, s12, v76
	v_add_f16_e32 v84, v84, v86
	v_mul_f16_e32 v86, 0xbbad, v31
	v_add_f16_e32 v14, v0, v5
	v_fma_f16 v0, v37, s6, -v77
	v_fma_f16 v87, v32, s8, v86
	v_add_f16_e32 v0, v7, v0
	v_fma_f16 v5, v47, s0, -v79
	v_add_f16_e32 v84, v84, v87
	v_mul_f16_e32 v87, 0xb08e, v33
	v_add_f16_e32 v0, v0, v5
	v_fma_f16 v5, v50, s4, -v80
	v_fma_f16 v88, v34, s15, v87
	v_add_f16_e32 v0, v0, v5
	v_fma_f16 v5, v53, s2, -v81
	v_add_f16_e32 v84, v84, v88
	v_mul_f16_e32 v88, 0x3abb, v35
	v_add_f16_e32 v0, v0, v5
	v_fma_f16 v5, v56, s1, -v82
	v_fma_f16 v89, v36, s3, v88
	v_add_f16_e32 v17, v0, v5
	v_fma_f16 v0, v28, s7, v83
	v_add_f16_e32 v84, v84, v89
	v_mul_f16_e32 v89, 0xbb47, v38
	v_add_f16_e32 v0, v16, v0
	v_fma_f16 v5, v30, s12, v85
	v_fma_f16 v90, v37, s4, v89
	v_mul_f16_e32 v91, 0xba0c, v48
	v_add_f16_e32 v0, v0, v5
	v_fma_f16 v5, v32, s5, v86
	v_add_f16_e32 v90, v7, v90
	v_fma_f16 v92, v47, s1, v91
	;; [unrolled: 2-line block ×3, first 2 shown]
	v_add_f16_e32 v90, v90, v92
	v_mul_f16_e32 v92, 0x3482, v51
	v_add_f16_e32 v0, v0, v5
	v_fma_f16 v5, v36, s14, v88
	v_fma_f16 v93, v50, s0, v92
	v_add_f16_e32 v18, v0, v5
	v_fma_f16 v0, v37, s4, -v89
	v_add_f16_e32 v90, v90, v93
	v_mul_f16_e32 v93, 0x3beb, v54
	v_add_f16_e32 v0, v7, v0
	v_fma_f16 v5, v47, s1, -v91
	v_fma_f16 v94, v53, s6, v93
	v_add_f16_e32 v0, v0, v5
	v_fma_f16 v5, v50, s0, -v92
	v_add_f16_e32 v90, v90, v94
	v_mul_f16_e32 v94, 0x3853, v57
	v_add_f16_e32 v0, v0, v5
	v_fma_f16 v5, v53, s6, -v93
	v_mul_f16_e32 v27, 0x3abb, v27
	v_add_f16_e32 v0, v0, v5
	v_fma_f16 v5, v56, s2, -v94
	v_mul_f16_e32 v29, 0x36a6, v29
	v_add_f16_e32 v19, v0, v5
	v_fma_f16 v0, v28, s3, v27
	v_fma_f16 v95, v56, s2, v94
	v_mul_f16_e32 v31, 0xb08e, v31
	v_add_f16_e32 v0, v16, v0
	v_fma_f16 v5, v30, s7, v29
	v_add_f16_e32 v90, v90, v95
	v_fma_f16 v95, v28, s14, v27
	v_mul_f16_e32 v33, 0xb93d, v33
	v_add_f16_e32 v0, v0, v5
	v_fma_f16 v5, v32, s15, v31
	v_add_f16_e32 v95, v16, v95
	;; [unrolled: 5-line block ×4, first 2 shown]
	v_fma_f16 v96, v34, s13, v33
	v_mul_f16_e32 v48, 0xbb47, v48
	v_add_f16_e32 v16, v0, v5
	v_fma_f16 v0, v37, s2, -v38
	v_add_f16_e32 v95, v95, v96
	v_fma_f16 v96, v36, s5, v35
	v_add_f16_e32 v0, v7, v0
	v_fma_f16 v5, v47, s4, -v48
	v_add_f16_e32 v95, v95, v96
	v_fma_f16 v96, v37, s2, v38
	v_add_f16_e32 v0, v0, v5
	v_mad_u64_u32 v[5:6], s[2:3], s20, v15, 0
	v_mul_f16_e32 v51, 0xbbeb, v51
	v_add_f16_e32 v96, v7, v96
	v_fma_f16 v7, v50, s6, -v51
	v_mul_f16_e32 v54, 0xba0c, v54
	v_add_f16_e32 v20, v0, v7
	v_mov_b32_e32 v0, v6
	v_mul_f16_e32 v57, 0xb482, v57
	v_fma_f16 v21, v53, s1, -v54
	v_mad_u64_u32 v[6:7], s[2:3], s21, v15, v[0:1]
	v_add_f16_e32 v0, v20, v21
	v_fma_f16 v7, v56, s0, -v57
	v_add_f16_e32 v7, v0, v7
	v_mov_b32_e32 v0, s11
	v_addc_co_u32_e32 v4, vcc, v0, v4, vcc
	v_lshlrev_b64 v[0:1], 2, v[1:2]
	v_fma_f16 v97, v47, s4, v48
	v_add_f16_e32 v96, v96, v97
	v_fma_f16 v97, v50, s6, v51
	v_add_co_u32_e32 v20, vcc, v3, v0
	v_add_f16_e32 v96, v96, v97
	v_fma_f16 v97, v53, s1, v54
	v_addc_co_u32_e32 v21, vcc, v4, v1, vcc
	v_add_u32_e32 v4, 0x63, v15
	v_add_f16_e32 v96, v96, v97
	v_fma_f16 v97, v56, s0, v57
	v_mad_u64_u32 v[2:3], s[0:1], s20, v4, 0
	v_lshlrev_b64 v[0:1], 2, v[5:6]
	v_pack_b32_f16 v6, v8, v9
	v_mad_u64_u32 v[3:4], s[0:1], s21, v4, v[3:4]
	v_add_u32_e32 v8, 0xc6, v15
	v_mad_u64_u32 v[4:5], s[0:1], s20, v8, 0
	v_add_co_u32_e32 v0, vcc, v20, v0
	v_addc_co_u32_e32 v1, vcc, v21, v1, vcc
	global_store_dword v[0:1], v6, off
	v_lshlrev_b64 v[0:1], 2, v[2:3]
	v_mov_b32_e32 v2, v5
	v_mad_u64_u32 v[2:3], s[0:1], s21, v8, v[2:3]
	v_add_f16_e32 v96, v96, v97
	v_add_co_u32_e32 v0, vcc, v20, v0
	v_addc_co_u32_e32 v1, vcc, v21, v1, vcc
	v_pack_b32_f16 v3, v96, v95
	v_mov_b32_e32 v5, v2
	global_store_dword v[0:1], v3, off
	v_lshlrev_b64 v[0:1], 2, v[4:5]
	v_add_u32_e32 v4, 0x129, v15
	v_mad_u64_u32 v[2:3], s[0:1], s20, v4, 0
	v_add_u32_e32 v8, 0x18c, v15
	v_add_co_u32_e32 v0, vcc, v20, v0
	v_mad_u64_u32 v[3:4], s[0:1], s21, v4, v[3:4]
	v_mad_u64_u32 v[4:5], s[0:1], s20, v8, 0
	v_addc_co_u32_e32 v1, vcc, v21, v1, vcc
	v_pack_b32_f16 v6, v90, v84
	global_store_dword v[0:1], v6, off
	v_lshlrev_b64 v[0:1], 2, v[2:3]
	v_mov_b32_e32 v2, v5
	v_mad_u64_u32 v[2:3], s[0:1], s21, v8, v[2:3]
	v_add_co_u32_e32 v0, vcc, v20, v0
	v_addc_co_u32_e32 v1, vcc, v21, v1, vcc
	v_pack_b32_f16 v3, v78, v72
	v_mov_b32_e32 v5, v2
	global_store_dword v[0:1], v3, off
	v_lshlrev_b64 v[0:1], 2, v[4:5]
	v_add_u32_e32 v4, 0x1ef, v15
	v_mad_u64_u32 v[2:3], s[0:1], s20, v4, 0
	v_add_u32_e32 v8, 0x252, v15
	v_add_co_u32_e32 v0, vcc, v20, v0
	v_mad_u64_u32 v[3:4], s[0:1], s21, v4, v[3:4]
	v_mad_u64_u32 v[4:5], s[0:1], s20, v8, 0
	v_addc_co_u32_e32 v1, vcc, v21, v1, vcc
	v_pack_b32_f16 v6, v66, v60
	global_store_dword v[0:1], v6, off
	v_lshlrev_b64 v[0:1], 2, v[2:3]
	v_mov_b32_e32 v2, v5
	v_mad_u64_u32 v[2:3], s[0:1], s21, v8, v[2:3]
	v_add_co_u32_e32 v0, vcc, v20, v0
	v_addc_co_u32_e32 v1, vcc, v21, v1, vcc
	v_pack_b32_f16 v3, v46, v44
	v_mov_b32_e32 v5, v2
	global_store_dword v[0:1], v3, off
	v_lshlrev_b64 v[0:1], 2, v[4:5]
	v_add_u32_e32 v4, 0x2b5, v15
	v_mad_u64_u32 v[2:3], s[0:1], s20, v4, 0
	v_add_u32_e32 v8, 0x318, v15
	v_add_co_u32_e32 v0, vcc, v20, v0
	v_mad_u64_u32 v[3:4], s[0:1], s21, v4, v[3:4]
	v_mad_u64_u32 v[4:5], s[0:1], s20, v8, 0
	v_addc_co_u32_e32 v1, vcc, v21, v1, vcc
	v_pack_b32_f16 v6, v11, v10
	global_store_dword v[0:1], v6, off
	v_lshlrev_b64 v[0:1], 2, v[2:3]
	v_mov_b32_e32 v2, v5
	v_mad_u64_u32 v[2:3], s[0:1], s21, v8, v[2:3]
	v_add_co_u32_e32 v0, vcc, v20, v0
	v_addc_co_u32_e32 v1, vcc, v21, v1, vcc
	v_pack_b32_f16 v3, v13, v12
	v_mov_b32_e32 v5, v2
	global_store_dword v[0:1], v3, off
	v_lshlrev_b64 v[0:1], 2, v[4:5]
	v_add_u32_e32 v4, 0x37b, v15
	v_mad_u64_u32 v[2:3], s[0:1], s20, v4, 0
	v_add_u32_e32 v8, 0x3de, v15
	v_add_co_u32_e32 v0, vcc, v20, v0
	v_mad_u64_u32 v[3:4], s[0:1], s21, v4, v[3:4]
	v_mad_u64_u32 v[4:5], s[0:1], s20, v8, 0
	v_addc_co_u32_e32 v1, vcc, v21, v1, vcc
	v_pack_b32_f16 v6, v17, v14
	global_store_dword v[0:1], v6, off
	v_lshlrev_b64 v[0:1], 2, v[2:3]
	v_mov_b32_e32 v2, v5
	v_mad_u64_u32 v[2:3], s[0:1], s21, v8, v[2:3]
	v_add_co_u32_e32 v0, vcc, v20, v0
	v_addc_co_u32_e32 v1, vcc, v21, v1, vcc
	v_pack_b32_f16 v3, v19, v18
	v_mov_b32_e32 v5, v2
	global_store_dword v[0:1], v3, off
	v_lshlrev_b64 v[0:1], 2, v[4:5]
	v_pack_b32_f16 v2, v7, v16
	v_add_co_u32_e32 v0, vcc, v20, v0
	v_addc_co_u32_e32 v1, vcc, v21, v1, vcc
	global_store_dword v[0:1], v2, off
.LBB0_21:
	s_endpgm
	.section	.rodata,"a",@progbits
	.p2align	6, 0x0
	.amdhsa_kernel fft_rtc_back_len1089_factors_3_11_3_11_wgs_121_tpt_121_half_op_CI_CI_sbrr_dirReg
		.amdhsa_group_segment_fixed_size 0
		.amdhsa_private_segment_fixed_size 0
		.amdhsa_kernarg_size 104
		.amdhsa_user_sgpr_count 6
		.amdhsa_user_sgpr_private_segment_buffer 1
		.amdhsa_user_sgpr_dispatch_ptr 0
		.amdhsa_user_sgpr_queue_ptr 0
		.amdhsa_user_sgpr_kernarg_segment_ptr 1
		.amdhsa_user_sgpr_dispatch_id 0
		.amdhsa_user_sgpr_flat_scratch_init 0
		.amdhsa_user_sgpr_private_segment_size 0
		.amdhsa_uses_dynamic_stack 0
		.amdhsa_system_sgpr_private_segment_wavefront_offset 0
		.amdhsa_system_sgpr_workgroup_id_x 1
		.amdhsa_system_sgpr_workgroup_id_y 0
		.amdhsa_system_sgpr_workgroup_id_z 0
		.amdhsa_system_sgpr_workgroup_info 0
		.amdhsa_system_vgpr_workitem_id 0
		.amdhsa_next_free_vgpr 101
		.amdhsa_next_free_sgpr 32
		.amdhsa_reserve_vcc 1
		.amdhsa_reserve_flat_scratch 0
		.amdhsa_float_round_mode_32 0
		.amdhsa_float_round_mode_16_64 0
		.amdhsa_float_denorm_mode_32 3
		.amdhsa_float_denorm_mode_16_64 3
		.amdhsa_dx10_clamp 1
		.amdhsa_ieee_mode 1
		.amdhsa_fp16_overflow 0
		.amdhsa_exception_fp_ieee_invalid_op 0
		.amdhsa_exception_fp_denorm_src 0
		.amdhsa_exception_fp_ieee_div_zero 0
		.amdhsa_exception_fp_ieee_overflow 0
		.amdhsa_exception_fp_ieee_underflow 0
		.amdhsa_exception_fp_ieee_inexact 0
		.amdhsa_exception_int_div_zero 0
	.end_amdhsa_kernel
	.text
.Lfunc_end0:
	.size	fft_rtc_back_len1089_factors_3_11_3_11_wgs_121_tpt_121_half_op_CI_CI_sbrr_dirReg, .Lfunc_end0-fft_rtc_back_len1089_factors_3_11_3_11_wgs_121_tpt_121_half_op_CI_CI_sbrr_dirReg
                                        ; -- End function
	.section	.AMDGPU.csdata,"",@progbits
; Kernel info:
; codeLenInByte = 9064
; NumSgprs: 36
; NumVgprs: 101
; ScratchSize: 0
; MemoryBound: 0
; FloatMode: 240
; IeeeMode: 1
; LDSByteSize: 0 bytes/workgroup (compile time only)
; SGPRBlocks: 4
; VGPRBlocks: 25
; NumSGPRsForWavesPerEU: 36
; NumVGPRsForWavesPerEU: 101
; Occupancy: 2
; WaveLimiterHint : 1
; COMPUTE_PGM_RSRC2:SCRATCH_EN: 0
; COMPUTE_PGM_RSRC2:USER_SGPR: 6
; COMPUTE_PGM_RSRC2:TRAP_HANDLER: 0
; COMPUTE_PGM_RSRC2:TGID_X_EN: 1
; COMPUTE_PGM_RSRC2:TGID_Y_EN: 0
; COMPUTE_PGM_RSRC2:TGID_Z_EN: 0
; COMPUTE_PGM_RSRC2:TIDIG_COMP_CNT: 0
	.type	__hip_cuid_81089262dab2ef82,@object ; @__hip_cuid_81089262dab2ef82
	.section	.bss,"aw",@nobits
	.globl	__hip_cuid_81089262dab2ef82
__hip_cuid_81089262dab2ef82:
	.byte	0                               ; 0x0
	.size	__hip_cuid_81089262dab2ef82, 1

	.ident	"AMD clang version 19.0.0git (https://github.com/RadeonOpenCompute/llvm-project roc-6.4.0 25133 c7fe45cf4b819c5991fe208aaa96edf142730f1d)"
	.section	".note.GNU-stack","",@progbits
	.addrsig
	.addrsig_sym __hip_cuid_81089262dab2ef82
	.amdgpu_metadata
---
amdhsa.kernels:
  - .args:
      - .actual_access:  read_only
        .address_space:  global
        .offset:         0
        .size:           8
        .value_kind:     global_buffer
      - .offset:         8
        .size:           8
        .value_kind:     by_value
      - .actual_access:  read_only
        .address_space:  global
        .offset:         16
        .size:           8
        .value_kind:     global_buffer
      - .actual_access:  read_only
        .address_space:  global
        .offset:         24
        .size:           8
        .value_kind:     global_buffer
      - .actual_access:  read_only
        .address_space:  global
        .offset:         32
        .size:           8
        .value_kind:     global_buffer
      - .offset:         40
        .size:           8
        .value_kind:     by_value
      - .actual_access:  read_only
        .address_space:  global
        .offset:         48
        .size:           8
        .value_kind:     global_buffer
      - .actual_access:  read_only
        .address_space:  global
        .offset:         56
        .size:           8
        .value_kind:     global_buffer
      - .offset:         64
        .size:           4
        .value_kind:     by_value
      - .actual_access:  read_only
        .address_space:  global
        .offset:         72
        .size:           8
        .value_kind:     global_buffer
      - .actual_access:  read_only
        .address_space:  global
        .offset:         80
        .size:           8
        .value_kind:     global_buffer
      - .actual_access:  read_only
        .address_space:  global
        .offset:         88
        .size:           8
        .value_kind:     global_buffer
      - .actual_access:  write_only
        .address_space:  global
        .offset:         96
        .size:           8
        .value_kind:     global_buffer
    .group_segment_fixed_size: 0
    .kernarg_segment_align: 8
    .kernarg_segment_size: 104
    .language:       OpenCL C
    .language_version:
      - 2
      - 0
    .max_flat_workgroup_size: 121
    .name:           fft_rtc_back_len1089_factors_3_11_3_11_wgs_121_tpt_121_half_op_CI_CI_sbrr_dirReg
    .private_segment_fixed_size: 0
    .sgpr_count:     36
    .sgpr_spill_count: 0
    .symbol:         fft_rtc_back_len1089_factors_3_11_3_11_wgs_121_tpt_121_half_op_CI_CI_sbrr_dirReg.kd
    .uniform_work_group_size: 1
    .uses_dynamic_stack: false
    .vgpr_count:     101
    .vgpr_spill_count: 0
    .wavefront_size: 64
amdhsa.target:   amdgcn-amd-amdhsa--gfx906
amdhsa.version:
  - 1
  - 2
...

	.end_amdgpu_metadata
